;; amdgpu-corpus repo=ROCm/rocFFT kind=compiled arch=gfx906 opt=O3
	.text
	.amdgcn_target "amdgcn-amd-amdhsa--gfx906"
	.amdhsa_code_object_version 6
	.protected	fft_rtc_back_len972_factors_3_6_3_6_3_wgs_162_tpt_162_halfLds_sp_op_CI_CI_unitstride_sbrr_dirReg ; -- Begin function fft_rtc_back_len972_factors_3_6_3_6_3_wgs_162_tpt_162_halfLds_sp_op_CI_CI_unitstride_sbrr_dirReg
	.globl	fft_rtc_back_len972_factors_3_6_3_6_3_wgs_162_tpt_162_halfLds_sp_op_CI_CI_unitstride_sbrr_dirReg
	.p2align	8
	.type	fft_rtc_back_len972_factors_3_6_3_6_3_wgs_162_tpt_162_halfLds_sp_op_CI_CI_unitstride_sbrr_dirReg,@function
fft_rtc_back_len972_factors_3_6_3_6_3_wgs_162_tpt_162_halfLds_sp_op_CI_CI_unitstride_sbrr_dirReg: ; @fft_rtc_back_len972_factors_3_6_3_6_3_wgs_162_tpt_162_halfLds_sp_op_CI_CI_unitstride_sbrr_dirReg
; %bb.0:
	s_load_dwordx4 s[8:11], s[4:5], 0x58
	s_load_dwordx4 s[12:15], s[4:5], 0x0
	;; [unrolled: 1-line block ×3, first 2 shown]
	v_mul_u32_u24_e32 v1, 0x195, v0
	v_mov_b32_e32 v7, 0
	v_mov_b32_e32 v5, 0
	s_waitcnt lgkmcnt(0)
	v_cmp_lt_u64_e64 s[0:1], s[14:15], 2
	v_add_u32_sdwa v9, s6, v1 dst_sel:DWORD dst_unused:UNUSED_PAD src0_sel:DWORD src1_sel:WORD_1
	v_mov_b32_e32 v10, v7
	s_and_b64 vcc, exec, s[0:1]
	v_mov_b32_e32 v6, 0
	s_cbranch_vccnz .LBB0_8
; %bb.1:
	s_load_dwordx2 s[0:1], s[4:5], 0x10
	s_add_u32 s2, s18, 8
	s_addc_u32 s3, s19, 0
	s_add_u32 s6, s16, 8
	s_addc_u32 s7, s17, 0
	v_mov_b32_e32 v5, 0
	s_waitcnt lgkmcnt(0)
	s_add_u32 s20, s0, 8
	v_mov_b32_e32 v6, 0
	v_mov_b32_e32 v1, v5
	s_addc_u32 s21, s1, 0
	s_mov_b64 s[22:23], 1
	v_mov_b32_e32 v2, v6
.LBB0_2:                                ; =>This Inner Loop Header: Depth=1
	s_load_dwordx2 s[24:25], s[20:21], 0x0
                                        ; implicit-def: $vgpr3_vgpr4
	s_waitcnt lgkmcnt(0)
	v_or_b32_e32 v8, s25, v10
	v_cmp_ne_u64_e32 vcc, 0, v[7:8]
	s_and_saveexec_b64 s[0:1], vcc
	s_xor_b64 s[26:27], exec, s[0:1]
	s_cbranch_execz .LBB0_4
; %bb.3:                                ;   in Loop: Header=BB0_2 Depth=1
	v_cvt_f32_u32_e32 v3, s24
	v_cvt_f32_u32_e32 v4, s25
	s_sub_u32 s0, 0, s24
	s_subb_u32 s1, 0, s25
	v_mac_f32_e32 v3, 0x4f800000, v4
	v_rcp_f32_e32 v3, v3
	v_mul_f32_e32 v3, 0x5f7ffffc, v3
	v_mul_f32_e32 v4, 0x2f800000, v3
	v_trunc_f32_e32 v4, v4
	v_mac_f32_e32 v3, 0xcf800000, v4
	v_cvt_u32_f32_e32 v4, v4
	v_cvt_u32_f32_e32 v3, v3
	v_mul_lo_u32 v8, s0, v4
	v_mul_hi_u32 v11, s0, v3
	v_mul_lo_u32 v13, s1, v3
	v_mul_lo_u32 v12, s0, v3
	v_add_u32_e32 v8, v11, v8
	v_add_u32_e32 v8, v8, v13
	v_mul_hi_u32 v11, v3, v12
	v_mul_lo_u32 v13, v3, v8
	v_mul_hi_u32 v15, v3, v8
	v_mul_hi_u32 v14, v4, v12
	v_mul_lo_u32 v12, v4, v12
	v_mul_hi_u32 v16, v4, v8
	v_add_co_u32_e32 v11, vcc, v11, v13
	v_addc_co_u32_e32 v13, vcc, 0, v15, vcc
	v_mul_lo_u32 v8, v4, v8
	v_add_co_u32_e32 v11, vcc, v11, v12
	v_addc_co_u32_e32 v11, vcc, v13, v14, vcc
	v_addc_co_u32_e32 v12, vcc, 0, v16, vcc
	v_add_co_u32_e32 v8, vcc, v11, v8
	v_addc_co_u32_e32 v11, vcc, 0, v12, vcc
	v_add_co_u32_e32 v3, vcc, v3, v8
	v_addc_co_u32_e32 v4, vcc, v4, v11, vcc
	v_mul_lo_u32 v8, s0, v4
	v_mul_hi_u32 v11, s0, v3
	v_mul_lo_u32 v12, s1, v3
	v_mul_lo_u32 v13, s0, v3
	v_add_u32_e32 v8, v11, v8
	v_add_u32_e32 v8, v8, v12
	v_mul_lo_u32 v14, v3, v8
	v_mul_hi_u32 v15, v3, v13
	v_mul_hi_u32 v16, v3, v8
	v_mul_hi_u32 v12, v4, v13
	v_mul_lo_u32 v13, v4, v13
	v_mul_hi_u32 v11, v4, v8
	v_add_co_u32_e32 v14, vcc, v15, v14
	v_addc_co_u32_e32 v15, vcc, 0, v16, vcc
	v_mul_lo_u32 v8, v4, v8
	v_add_co_u32_e32 v13, vcc, v14, v13
	v_addc_co_u32_e32 v12, vcc, v15, v12, vcc
	v_addc_co_u32_e32 v11, vcc, 0, v11, vcc
	v_add_co_u32_e32 v8, vcc, v12, v8
	v_addc_co_u32_e32 v11, vcc, 0, v11, vcc
	v_add_co_u32_e32 v8, vcc, v3, v8
	v_addc_co_u32_e32 v11, vcc, v4, v11, vcc
	v_mad_u64_u32 v[3:4], s[0:1], v9, v11, 0
	v_mul_hi_u32 v12, v9, v8
	v_add_co_u32_e32 v13, vcc, v12, v3
	v_addc_co_u32_e32 v14, vcc, 0, v4, vcc
	v_mad_u64_u32 v[3:4], s[0:1], v10, v8, 0
	v_mad_u64_u32 v[11:12], s[0:1], v10, v11, 0
	v_add_co_u32_e32 v3, vcc, v13, v3
	v_addc_co_u32_e32 v3, vcc, v14, v4, vcc
	v_addc_co_u32_e32 v4, vcc, 0, v12, vcc
	v_add_co_u32_e32 v8, vcc, v3, v11
	v_addc_co_u32_e32 v11, vcc, 0, v4, vcc
	v_mul_lo_u32 v12, s25, v8
	v_mul_lo_u32 v13, s24, v11
	v_mad_u64_u32 v[3:4], s[0:1], s24, v8, 0
	v_add3_u32 v4, v4, v13, v12
	v_sub_u32_e32 v12, v10, v4
	v_mov_b32_e32 v13, s25
	v_sub_co_u32_e32 v3, vcc, v9, v3
	v_subb_co_u32_e64 v12, s[0:1], v12, v13, vcc
	v_subrev_co_u32_e64 v13, s[0:1], s24, v3
	v_subbrev_co_u32_e64 v12, s[0:1], 0, v12, s[0:1]
	v_cmp_le_u32_e64 s[0:1], s25, v12
	v_cndmask_b32_e64 v14, 0, -1, s[0:1]
	v_cmp_le_u32_e64 s[0:1], s24, v13
	v_cndmask_b32_e64 v13, 0, -1, s[0:1]
	v_cmp_eq_u32_e64 s[0:1], s25, v12
	v_cndmask_b32_e64 v12, v14, v13, s[0:1]
	v_add_co_u32_e64 v13, s[0:1], 2, v8
	v_addc_co_u32_e64 v14, s[0:1], 0, v11, s[0:1]
	v_add_co_u32_e64 v15, s[0:1], 1, v8
	v_addc_co_u32_e64 v16, s[0:1], 0, v11, s[0:1]
	v_subb_co_u32_e32 v4, vcc, v10, v4, vcc
	v_cmp_ne_u32_e64 s[0:1], 0, v12
	v_cmp_le_u32_e32 vcc, s25, v4
	v_cndmask_b32_e64 v12, v16, v14, s[0:1]
	v_cndmask_b32_e64 v14, 0, -1, vcc
	v_cmp_le_u32_e32 vcc, s24, v3
	v_cndmask_b32_e64 v3, 0, -1, vcc
	v_cmp_eq_u32_e32 vcc, s25, v4
	v_cndmask_b32_e32 v3, v14, v3, vcc
	v_cmp_ne_u32_e32 vcc, 0, v3
	v_cndmask_b32_e64 v3, v15, v13, s[0:1]
	v_cndmask_b32_e32 v4, v11, v12, vcc
	v_cndmask_b32_e32 v3, v8, v3, vcc
.LBB0_4:                                ;   in Loop: Header=BB0_2 Depth=1
	s_andn2_saveexec_b64 s[0:1], s[26:27]
	s_cbranch_execz .LBB0_6
; %bb.5:                                ;   in Loop: Header=BB0_2 Depth=1
	v_cvt_f32_u32_e32 v3, s24
	s_sub_i32 s26, 0, s24
	v_rcp_iflag_f32_e32 v3, v3
	v_mul_f32_e32 v3, 0x4f7ffffe, v3
	v_cvt_u32_f32_e32 v3, v3
	v_mul_lo_u32 v4, s26, v3
	v_mul_hi_u32 v4, v3, v4
	v_add_u32_e32 v3, v3, v4
	v_mul_hi_u32 v3, v9, v3
	v_mul_lo_u32 v4, v3, s24
	v_add_u32_e32 v8, 1, v3
	v_sub_u32_e32 v4, v9, v4
	v_subrev_u32_e32 v11, s24, v4
	v_cmp_le_u32_e32 vcc, s24, v4
	v_cndmask_b32_e32 v4, v4, v11, vcc
	v_cndmask_b32_e32 v3, v3, v8, vcc
	v_add_u32_e32 v8, 1, v3
	v_cmp_le_u32_e32 vcc, s24, v4
	v_cndmask_b32_e32 v3, v3, v8, vcc
	v_mov_b32_e32 v4, v7
.LBB0_6:                                ;   in Loop: Header=BB0_2 Depth=1
	s_or_b64 exec, exec, s[0:1]
	v_mul_lo_u32 v8, v4, s24
	v_mul_lo_u32 v13, v3, s25
	v_mad_u64_u32 v[11:12], s[0:1], v3, s24, 0
	s_load_dwordx2 s[0:1], s[6:7], 0x0
	s_load_dwordx2 s[24:25], s[2:3], 0x0
	v_add3_u32 v8, v12, v13, v8
	v_sub_co_u32_e32 v9, vcc, v9, v11
	v_subb_co_u32_e32 v8, vcc, v10, v8, vcc
	s_waitcnt lgkmcnt(0)
	v_mul_lo_u32 v10, s0, v8
	v_mul_lo_u32 v11, s1, v9
	v_mad_u64_u32 v[5:6], s[0:1], s0, v9, v[5:6]
	v_mul_lo_u32 v8, s24, v8
	v_mul_lo_u32 v12, s25, v9
	v_mad_u64_u32 v[1:2], s[0:1], s24, v9, v[1:2]
	s_add_u32 s22, s22, 1
	s_addc_u32 s23, s23, 0
	s_add_u32 s2, s2, 8
	v_add3_u32 v2, v12, v2, v8
	s_addc_u32 s3, s3, 0
	v_mov_b32_e32 v8, s14
	s_add_u32 s6, s6, 8
	v_mov_b32_e32 v9, s15
	s_addc_u32 s7, s7, 0
	v_cmp_ge_u64_e32 vcc, s[22:23], v[8:9]
	s_add_u32 s20, s20, 8
	v_add3_u32 v6, v11, v6, v10
	s_addc_u32 s21, s21, 0
	s_cbranch_vccnz .LBB0_9
; %bb.7:                                ;   in Loop: Header=BB0_2 Depth=1
	v_mov_b32_e32 v10, v4
	v_mov_b32_e32 v9, v3
	s_branch .LBB0_2
.LBB0_8:
	v_mov_b32_e32 v1, v5
	v_mov_b32_e32 v3, v9
	;; [unrolled: 1-line block ×4, first 2 shown]
.LBB0_9:
	s_load_dwordx2 s[4:5], s[4:5], 0x28
	s_lshl_b64 s[6:7], s[14:15], 3
	s_add_u32 s2, s18, s6
	s_addc_u32 s3, s19, s7
                                        ; implicit-def: $vgpr18
	s_waitcnt lgkmcnt(0)
	v_cmp_gt_u64_e64 s[0:1], s[4:5], v[3:4]
	v_cmp_le_u64_e32 vcc, s[4:5], v[3:4]
	s_and_saveexec_b64 s[4:5], vcc
	s_xor_b64 s[4:5], exec, s[4:5]
; %bb.10:
	s_mov_b32 s14, 0x1948b10
	v_mul_hi_u32 v5, v0, s14
	v_mul_u32_u24_e32 v5, 0xa2, v5
	v_sub_u32_e32 v18, v0, v5
                                        ; implicit-def: $vgpr0
                                        ; implicit-def: $vgpr5_vgpr6
; %bb.11:
	s_or_saveexec_b64 s[4:5], s[4:5]
                                        ; implicit-def: $vgpr13
                                        ; implicit-def: $vgpr11
                                        ; implicit-def: $vgpr9
                                        ; implicit-def: $vgpr17
                                        ; implicit-def: $vgpr15
                                        ; implicit-def: $vgpr7
	s_xor_b64 exec, exec, s[4:5]
	s_cbranch_execz .LBB0_13
; %bb.12:
	s_add_u32 s6, s16, s6
	s_addc_u32 s7, s17, s7
	s_load_dwordx2 s[6:7], s[6:7], 0x0
	s_mov_b32 s14, 0x1948b10
	v_mul_hi_u32 v9, v0, s14
	v_lshlrev_b64 v[5:6], 3, v[5:6]
	s_waitcnt lgkmcnt(0)
	v_mul_lo_u32 v10, s7, v3
	v_mul_lo_u32 v11, s6, v4
	v_mad_u64_u32 v[7:8], s[6:7], s6, v3, 0
	v_mul_u32_u24_e32 v9, 0xa2, v9
	v_sub_u32_e32 v18, v0, v9
	v_add3_u32 v8, v8, v11, v10
	v_lshlrev_b64 v[7:8], 3, v[7:8]
	v_mov_b32_e32 v0, s9
	v_add_co_u32_e32 v7, vcc, s8, v7
	v_addc_co_u32_e32 v0, vcc, v0, v8, vcc
	v_add_co_u32_e32 v5, vcc, v7, v5
	v_addc_co_u32_e32 v0, vcc, v0, v6, vcc
	v_lshlrev_b32_e32 v6, 3, v18
	v_add_co_u32_e32 v19, vcc, v5, v6
	v_addc_co_u32_e32 v20, vcc, 0, v0, vcc
	s_movk_i32 s6, 0x1000
	v_add_co_u32_e32 v21, vcc, s6, v19
	global_load_dwordx2 v[6:7], v[19:20], off
	v_addc_co_u32_e32 v22, vcc, 0, v20, vcc
	global_load_dwordx2 v[10:11], v[19:20], off offset:3888
	global_load_dwordx2 v[14:15], v[19:20], off offset:2592
	;; [unrolled: 1-line block ×5, first 2 shown]
.LBB0_13:
	s_or_b64 exec, exec, s[4:5]
	s_waitcnt vmcnt(3)
	v_add_f32_e32 v0, v14, v6
	s_waitcnt vmcnt(1)
	v_add_f32_e32 v5, v16, v0
	v_add_f32_e32 v0, v16, v14
	v_fmac_f32_e32 v6, -0.5, v0
	v_sub_f32_e32 v0, v15, v17
	v_mov_b32_e32 v19, v6
	v_fmac_f32_e32 v19, 0xbf5db3d7, v0
	v_fmac_f32_e32 v6, 0x3f5db3d7, v0
	v_add_f32_e32 v0, v15, v7
	v_add_f32_e32 v20, v17, v0
	;; [unrolled: 1-line block ×3, first 2 shown]
	v_fmac_f32_e32 v7, -0.5, v0
	v_add_f32_e32 v0, v10, v8
	v_sub_f32_e32 v14, v14, v16
	s_waitcnt vmcnt(0)
	v_add_f32_e32 v16, v12, v0
	v_add_f32_e32 v0, v12, v10
	v_fmac_f32_e32 v8, -0.5, v0
	v_sub_f32_e32 v0, v11, v13
	v_mov_b32_e32 v17, v8
	v_fmac_f32_e32 v17, 0xbf5db3d7, v0
	v_fmac_f32_e32 v8, 0x3f5db3d7, v0
	v_add_f32_e32 v0, v11, v9
	v_add_f32_e32 v21, v13, v0
	;; [unrolled: 1-line block ×3, first 2 shown]
	v_mad_u32_u24 v0, v18, 12, 0
	v_lshlrev_b32_e32 v11, 3, v18
	s_load_dwordx2 s[2:3], s[2:3], 0x0
	v_mov_b32_e32 v15, v7
	ds_write2_b32 v0, v5, v19 offset1:1
	ds_write_b32 v0, v6 offset:8
	v_add_u32_e32 v6, 0x798, v0
	v_sub_u32_e32 v5, v0, v11
	v_fmac_f32_e32 v9, -0.5, v13
	v_fmac_f32_e32 v15, 0x3f5db3d7, v14
	v_sub_f32_e32 v12, v10, v12
	ds_write2_b32 v6, v16, v17 offset1:1
	ds_write_b32 v0, v8 offset:1952
	v_add_u32_e32 v8, 0x400, v5
	v_add_u32_e32 v10, 0xa00, v5
	v_fmac_f32_e32 v7, 0xbf5db3d7, v14
	v_mov_b32_e32 v13, v9
	s_movk_i32 s4, 0xab
	s_waitcnt lgkmcnt(0)
	s_barrier
	ds_read2_b32 v[16:17], v5 offset1:162
	ds_read2_b32 v[23:24], v8 offset0:68 offset1:230
	ds_read2_b32 v[25:26], v10 offset0:8 offset1:170
	s_waitcnt lgkmcnt(0)
	s_barrier
	ds_write2_b32 v0, v20, v15 offset1:1
	v_fmac_f32_e32 v13, 0x3f5db3d7, v12
	v_fmac_f32_e32 v9, 0xbf5db3d7, v12
	ds_write_b32 v0, v7 offset:8
	ds_write2_b32 v6, v21, v13 offset1:1
	ds_write_b32 v0, v9 offset:1952
	v_mul_lo_u16_sdwa v6, v18, s4 dst_sel:DWORD dst_unused:UNUSED_PAD src0_sel:BYTE_0 src1_sel:DWORD
	v_lshrrev_b16_e32 v9, 9, v6
	v_mul_lo_u16_e32 v6, 3, v9
	v_sub_u16_e32 v29, v18, v6
	v_mov_b32_e32 v30, 5
	v_mul_u32_u24_sdwa v6, v29, v30 dst_sel:DWORD dst_unused:UNUSED_PAD src0_sel:BYTE_0 src1_sel:DWORD
	v_lshlrev_b32_e32 v31, 3, v6
	s_waitcnt lgkmcnt(0)
	s_barrier
	global_load_dwordx4 v[12:15], v31, s[12:13]
	ds_read2_b32 v[6:7], v5 offset1:162
	ds_read2_b32 v[27:28], v8 offset0:68 offset1:230
	global_load_dwordx4 v[19:22], v31, s[12:13] offset:16
	v_mov_b32_e32 v35, 2
	v_mul_u32_u24_e32 v9, 0x48, v9
	s_mov_b32 s4, 0xe38f
	s_waitcnt vmcnt(1) lgkmcnt(1)
	v_mul_f32_e32 v32, v7, v13
	v_mul_f32_e32 v13, v17, v13
	v_fmac_f32_e32 v32, v17, v12
	v_fma_f32 v7, v7, v12, -v13
	global_load_dwordx2 v[12:13], v31, s[12:13] offset:32
	s_waitcnt lgkmcnt(0)
	v_mul_f32_e32 v33, v27, v15
	v_mul_f32_e32 v15, v23, v15
	v_fmac_f32_e32 v33, v23, v14
	v_fma_f32 v17, v27, v14, -v15
	ds_read2_b32 v[14:15], v10 offset0:8 offset1:170
	s_waitcnt vmcnt(1)
	v_mul_f32_e32 v23, v28, v20
	v_mul_f32_e32 v20, v24, v20
	v_fmac_f32_e32 v23, v24, v19
	v_fma_f32 v19, v28, v19, -v20
	v_mul_f32_e32 v20, v25, v22
	s_waitcnt lgkmcnt(0)
	v_mul_f32_e32 v24, v14, v22
	v_fma_f32 v14, v14, v21, -v20
	v_fmac_f32_e32 v24, v25, v21
	s_waitcnt vmcnt(0)
	s_barrier
	v_mul_f32_e32 v20, v15, v13
	v_mul_f32_e32 v13, v26, v13
	v_fmac_f32_e32 v20, v26, v12
	v_fma_f32 v12, v15, v12, -v13
	v_add_f32_e32 v15, v33, v24
	v_add_f32_e32 v21, v23, v20
	;; [unrolled: 1-line block ×4, first 2 shown]
	v_fmac_f32_e32 v16, -0.5, v15
	v_add_f32_e32 v15, v32, v23
	v_fmac_f32_e32 v32, -0.5, v21
	v_add_f32_e32 v21, v7, v19
	v_fmac_f32_e32 v7, -0.5, v22
	v_sub_f32_e32 v23, v23, v20
	v_sub_f32_e32 v19, v19, v12
	v_mov_b32_e32 v27, v7
	v_fmac_f32_e32 v7, 0xbf5db3d7, v23
	v_sub_f32_e32 v22, v17, v14
	v_mov_b32_e32 v26, v32
	v_fmac_f32_e32 v32, 0x3f5db3d7, v19
	v_mul_f32_e32 v28, 0xbf5db3d7, v7
	v_mov_b32_e32 v25, v16
	v_fmac_f32_e32 v16, 0x3f5db3d7, v22
	v_fmac_f32_e32 v28, -0.5, v32
	v_add_f32_e32 v31, v16, v28
	v_sub_f32_e32 v16, v16, v28
	v_add_f32_e32 v28, v6, v17
	v_add_f32_e32 v17, v17, v14
	v_fmac_f32_e32 v6, -0.5, v17
	v_mul_f32_e32 v7, -0.5, v7
	v_sub_f32_e32 v17, v33, v24
	v_fmac_f32_e32 v7, 0x3f5db3d7, v32
	v_mov_b32_e32 v32, v6
	v_fmac_f32_e32 v6, 0xbf5db3d7, v17
	v_add_f32_e32 v33, v6, v7
	v_sub_f32_e32 v34, v6, v7
	v_add_f32_e32 v6, v13, v24
	v_fmac_f32_e32 v27, 0x3f5db3d7, v23
	v_lshlrev_b32_sdwa v13, v35, v29 dst_sel:DWORD dst_unused:UNUSED_PAD src0_sel:DWORD src1_sel:BYTE_0
	v_fmac_f32_e32 v26, 0xbf5db3d7, v19
	v_add3_u32 v9, 0, v9, v13
	v_mul_f32_e32 v13, 0xbf5db3d7, v27
	v_fmac_f32_e32 v25, 0xbf5db3d7, v22
	v_add_f32_e32 v7, v15, v20
	v_fmac_f32_e32 v13, 0.5, v26
	v_add_f32_e32 v15, v6, v7
	v_add_f32_e32 v19, v25, v13
	ds_write2_b32 v9, v15, v19 offset1:3
	v_mul_f32_e32 v15, 0.5, v27
	v_add_f32_e32 v14, v28, v14
	v_fmac_f32_e32 v32, 0x3f5db3d7, v17
	v_add_f32_e32 v12, v21, v12
	v_fmac_f32_e32 v15, 0x3f5db3d7, v26
	v_sub_f32_e32 v6, v6, v7
	v_sub_f32_e32 v7, v25, v13
	ds_write2_b32 v9, v31, v6 offset0:6 offset1:9
	ds_write2_b32 v9, v7, v16 offset0:12 offset1:15
	v_add_f32_e32 v13, v14, v12
	v_add_f32_e32 v16, v32, v15
	v_sub_f32_e32 v12, v14, v12
	s_waitcnt lgkmcnt(0)
	s_barrier
	ds_read2_b32 v[6:7], v5 offset1:162
	ds_read2_b32 v[23:24], v8 offset0:68 offset1:230
	ds_read2_b32 v[25:26], v10 offset0:8 offset1:170
	s_waitcnt lgkmcnt(0)
	s_barrier
	ds_write2_b32 v9, v13, v16 offset1:3
	v_sub_f32_e32 v13, v32, v15
	ds_write2_b32 v9, v33, v12 offset0:6 offset1:9
	ds_write2_b32 v9, v13, v34 offset0:12 offset1:15
	v_mov_b32_e32 v9, 57
	v_mul_lo_u16_sdwa v9, v18, v9 dst_sel:DWORD dst_unused:UNUSED_PAD src0_sel:BYTE_0 src1_sel:DWORD
	v_lshrrev_b16_e32 v9, 10, v9
	v_mul_lo_u16_e32 v12, 18, v9
	v_sub_u16_e32 v17, v18, v12
	v_mov_b32_e32 v12, 4
	v_lshlrev_b32_sdwa v12, v12, v17 dst_sel:DWORD dst_unused:UNUSED_PAD src0_sel:DWORD src1_sel:BYTE_0
	s_waitcnt lgkmcnt(0)
	s_barrier
	global_load_dwordx4 v[13:16], v12, s[12:13] offset:120
	v_add_u32_e32 v12, 0xa2, v18
	v_mul_u32_u24_sdwa v19, v12, s4 dst_sel:DWORD dst_unused:UNUSED_PAD src0_sel:WORD_0 src1_sel:DWORD
	v_lshrrev_b32_e32 v29, 20, v19
	v_mul_lo_u16_e32 v19, 18, v29
	v_sub_u16_e32 v31, v12, v19
	v_lshlrev_b32_e32 v19, 4, v31
	global_load_dwordx4 v[19:22], v19, s[12:13] offset:120
	ds_read2_b32 v[27:28], v8 offset0:68 offset1:230
	v_mul_u32_u24_e32 v9, 0xd8, v9
	s_waitcnt vmcnt(1) lgkmcnt(0)
	v_mul_f32_e32 v32, v27, v14
	v_mul_f32_e32 v14, v23, v14
	v_fmac_f32_e32 v32, v23, v13
	v_fma_f32 v23, v27, v13, -v14
	ds_read2_b32 v[13:14], v10 offset0:8 offset1:170
	s_waitcnt lgkmcnt(0)
	v_mul_f32_e32 v27, v13, v16
	v_mul_f32_e32 v16, v25, v16
	v_fmac_f32_e32 v27, v25, v15
	v_fma_f32 v15, v13, v15, -v16
	s_waitcnt vmcnt(0)
	v_mul_f32_e32 v16, v28, v20
	v_mul_f32_e32 v13, v24, v20
	v_fmac_f32_e32 v16, v24, v19
	v_fma_f32 v19, v28, v19, -v13
	v_mul_f32_e32 v20, v14, v22
	v_mul_f32_e32 v13, v26, v22
	v_fmac_f32_e32 v20, v26, v21
	v_fma_f32 v21, v14, v21, -v13
	v_lshlrev_b32_sdwa v13, v35, v17 dst_sel:DWORD dst_unused:UNUSED_PAD src0_sel:DWORD src1_sel:BYTE_0
	v_add3_u32 v9, 0, v9, v13
	v_add_f32_e32 v13, v6, v32
	v_add_f32_e32 v17, v13, v27
	;; [unrolled: 1-line block ×3, first 2 shown]
	v_fma_f32 v6, -0.5, v13, v6
	v_sub_f32_e32 v22, v23, v15
	v_mov_b32_e32 v24, v6
	ds_read2_b32 v[13:14], v5 offset1:162
	v_fmac_f32_e32 v24, 0xbf5db3d7, v22
	v_fmac_f32_e32 v6, 0x3f5db3d7, v22
	v_add_f32_e32 v22, v16, v20
	s_waitcnt lgkmcnt(0)
	s_barrier
	ds_write2_b32 v9, v17, v24 offset1:18
	v_add_f32_e32 v17, v7, v16
	v_fmac_f32_e32 v7, -0.5, v22
	ds_write_b32 v9, v6 offset:144
	v_mul_u32_u24_e32 v6, 0xd8, v29
	v_lshlrev_b32_e32 v22, 2, v31
	v_add3_u32 v22, 0, v6, v22
	v_add_f32_e32 v6, v17, v20
	v_sub_f32_e32 v17, v19, v21
	v_mov_b32_e32 v24, v7
	v_fmac_f32_e32 v24, 0xbf5db3d7, v17
	ds_write2_b32 v22, v6, v24 offset1:18
	v_add_f32_e32 v6, v13, v23
	v_fmac_f32_e32 v7, 0x3f5db3d7, v17
	v_add_f32_e32 v17, v6, v15
	v_add_f32_e32 v6, v23, v15
	v_sub_f32_e32 v15, v32, v27
	v_fma_f32 v13, -0.5, v6, v13
	v_mov_b32_e32 v27, v13
	v_fmac_f32_e32 v13, 0xbf5db3d7, v15
	ds_write_b32 v22, v7 offset:144
	v_fmac_f32_e32 v27, 0x3f5db3d7, v15
	s_waitcnt lgkmcnt(0)
	s_barrier
	ds_read2_b32 v[6:7], v5 offset1:162
	ds_read2_b32 v[23:24], v8 offset0:68 offset1:230
	ds_read2_b32 v[25:26], v10 offset0:8 offset1:170
	s_waitcnt lgkmcnt(0)
	s_barrier
	ds_write_b32 v9, v13 offset:144
	v_add_f32_e32 v13, v19, v21
	ds_write2_b32 v9, v17, v27 offset1:18
	v_add_f32_e32 v9, v14, v19
	v_fmac_f32_e32 v14, -0.5, v13
	v_sub_f32_e32 v13, v16, v20
	v_mov_b32_e32 v15, v14
	v_add_f32_e32 v9, v9, v21
	v_fmac_f32_e32 v15, 0x3f5db3d7, v13
	v_fmac_f32_e32 v14, 0xbf5db3d7, v13
	ds_write2_b32 v22, v9, v15 offset1:18
	ds_write_b32 v22, v14 offset:144
	v_mov_b32_e32 v9, 19
	v_mul_lo_u16_sdwa v9, v18, v9 dst_sel:DWORD dst_unused:UNUSED_PAD src0_sel:BYTE_0 src1_sel:DWORD
	v_lshrrev_b16_e32 v9, 10, v9
	v_mul_lo_u16_e32 v13, 54, v9
	v_sub_u16_e32 v17, v18, v13
	v_mul_u32_u24_sdwa v13, v17, v30 dst_sel:DWORD dst_unused:UNUSED_PAD src0_sel:BYTE_0 src1_sel:DWORD
	v_lshlrev_b32_e32 v31, 3, v13
	s_waitcnt lgkmcnt(0)
	s_barrier
	global_load_dwordx4 v[13:16], v31, s[12:13] offset:408
	global_load_dwordx4 v[19:22], v31, s[12:13] offset:424
	ds_read2_b32 v[27:28], v5 offset1:162
	ds_read2_b32 v[29:30], v8 offset0:68 offset1:230
	v_lshlrev_b32_sdwa v17, v35, v17 dst_sel:DWORD dst_unused:UNUSED_PAD src0_sel:DWORD src1_sel:BYTE_0
	v_mul_u32_u24_e32 v9, 0x510, v9
	v_add3_u32 v17, 0, v9, v17
	s_waitcnt vmcnt(1) lgkmcnt(1)
	v_mul_f32_e32 v32, v28, v14
	v_fmac_f32_e32 v32, v7, v13
	v_mul_f32_e32 v7, v7, v14
	v_fma_f32 v7, v28, v13, -v7
	s_waitcnt lgkmcnt(0)
	v_mul_f32_e32 v28, v29, v16
	v_mul_f32_e32 v13, v23, v16
	v_fmac_f32_e32 v28, v23, v15
	v_fma_f32 v23, v29, v15, -v13
	global_load_dwordx2 v[13:14], v31, s[12:13] offset:440
	ds_read2_b32 v[15:16], v10 offset0:8 offset1:170
	s_waitcnt vmcnt(1)
	v_mul_f32_e32 v29, v30, v20
	v_mul_f32_e32 v20, v24, v20
	v_fmac_f32_e32 v29, v24, v19
	v_fma_f32 v19, v30, v19, -v20
	s_waitcnt lgkmcnt(0)
	v_mul_f32_e32 v20, v15, v22
	v_mul_f32_e32 v22, v25, v22
	v_fmac_f32_e32 v20, v25, v21
	v_fma_f32 v15, v15, v21, -v22
	s_waitcnt vmcnt(0)
	s_barrier
	v_mul_f32_e32 v21, v16, v14
	v_mul_f32_e32 v14, v26, v14
	v_fmac_f32_e32 v21, v26, v13
	v_fma_f32 v13, v16, v13, -v14
	v_add_f32_e32 v16, v28, v20
	v_add_f32_e32 v22, v29, v21
	;; [unrolled: 1-line block ×4, first 2 shown]
	v_fmac_f32_e32 v6, -0.5, v16
	v_add_f32_e32 v16, v32, v29
	v_fmac_f32_e32 v32, -0.5, v22
	v_add_f32_e32 v22, v7, v19
	v_fmac_f32_e32 v7, -0.5, v24
	v_sub_f32_e32 v29, v29, v21
	v_sub_f32_e32 v19, v19, v13
	v_mov_b32_e32 v30, v7
	v_fmac_f32_e32 v7, 0xbf5db3d7, v29
	v_sub_f32_e32 v24, v23, v15
	v_mov_b32_e32 v26, v32
	v_fmac_f32_e32 v32, 0x3f5db3d7, v19
	v_mul_f32_e32 v31, 0xbf5db3d7, v7
	v_mov_b32_e32 v25, v6
	v_fmac_f32_e32 v6, 0x3f5db3d7, v24
	v_fmac_f32_e32 v31, -0.5, v32
	v_add_f32_e32 v33, v6, v31
	v_sub_f32_e32 v6, v6, v31
	v_add_f32_e32 v31, v27, v23
	v_add_f32_e32 v23, v23, v15
	v_fmac_f32_e32 v27, -0.5, v23
	v_mul_f32_e32 v7, -0.5, v7
	v_sub_f32_e32 v23, v28, v20
	v_fmac_f32_e32 v7, 0x3f5db3d7, v32
	v_mov_b32_e32 v28, v27
	v_fmac_f32_e32 v27, 0xbf5db3d7, v23
	v_fmac_f32_e32 v30, 0x3f5db3d7, v29
	v_add_f32_e32 v32, v27, v7
	v_sub_f32_e32 v27, v27, v7
	v_add_f32_e32 v7, v14, v20
	v_add_f32_e32 v14, v31, v15
	v_add_f32_e32 v15, v16, v21
	v_fmac_f32_e32 v26, 0xbf5db3d7, v19
	v_mul_f32_e32 v16, 0xbf5db3d7, v30
	v_fmac_f32_e32 v25, 0xbf5db3d7, v24
	v_fmac_f32_e32 v16, 0.5, v26
	v_add_f32_e32 v20, v7, v15
	v_sub_f32_e32 v7, v7, v15
	v_add_f32_e32 v15, v25, v16
	v_sub_f32_e32 v16, v25, v16
	ds_write2_b32 v17, v20, v15 offset1:54
	ds_write2_b32 v17, v33, v7 offset0:108 offset1:162
	v_add_u32_e32 v15, 0x200, v17
	ds_write2_b32 v15, v16, v6 offset0:88 offset1:142
	s_waitcnt lgkmcnt(0)
	s_barrier
	ds_read2_b32 v[5:6], v5 offset1:162
	ds_read2_b32 v[7:8], v8 offset0:68 offset1:230
	ds_read2_b32 v[9:10], v10 offset0:8 offset1:170
	v_mul_f32_e32 v19, 0.5, v30
	v_fmac_f32_e32 v28, 0x3f5db3d7, v23
	v_add_f32_e32 v13, v22, v13
	v_fmac_f32_e32 v19, 0x3f5db3d7, v26
	v_add_f32_e32 v21, v14, v13
	v_sub_f32_e32 v13, v14, v13
	v_add_f32_e32 v14, v28, v19
	v_sub_f32_e32 v19, v28, v19
	s_waitcnt lgkmcnt(0)
	s_barrier
	ds_write2_b32 v17, v21, v14 offset1:54
	ds_write2_b32 v17, v32, v13 offset0:108 offset1:162
	ds_write2_b32 v15, v19, v27 offset0:88 offset1:142
	s_waitcnt lgkmcnt(0)
	s_barrier
	s_and_saveexec_b64 s[4:5], s[0:1]
	s_cbranch_execz .LBB0_15
; %bb.14:
	v_lshlrev_b32_e32 v16, 1, v12
	v_mov_b32_e32 v17, 0
	v_lshlrev_b64 v[12:13], 3, v[16:17]
	v_lshlrev_b32_e32 v16, 1, v18
	v_mov_b32_e32 v21, s13
	v_add_co_u32_e32 v12, vcc, s12, v12
	v_lshlrev_b64 v[19:20], 3, v[16:17]
	v_addc_co_u32_e32 v13, vcc, v21, v13, vcc
	v_add_co_u32_e32 v19, vcc, s12, v19
	global_load_dwordx4 v[12:15], v[12:13], off offset:2568
	v_addc_co_u32_e32 v20, vcc, v21, v20, vcc
	global_load_dwordx4 v[19:22], v[19:20], off offset:2568
	v_sub_u32_e32 v11, 0, v11
	v_mul_lo_u32 v16, s3, v3
	v_mul_lo_u32 v29, s2, v4
	v_mad_u64_u32 v[3:4], s[0:1], s2, v3, 0
	v_add_u32_e32 v0, v0, v11
	v_add_u32_e32 v25, 0x400, v0
	s_mov_b32 s0, 0xca4587e7
	ds_read2_b32 v[23:24], v0 offset1:162
	v_add_u32_e32 v0, 0xa00, v0
	ds_read2_b32 v[25:26], v25 offset0:68 offset1:230
	ds_read2_b32 v[27:28], v0 offset0:8 offset1:170
	v_mul_hi_u32 v11, v18, s0
	v_add3_u32 v4, v4, v29, v16
	v_lshlrev_b64 v[3:4], 3, v[3:4]
	v_mov_b32_e32 v30, s11
	v_lshrrev_b32_e32 v0, 8, v11
	v_add_co_u32_e32 v16, vcc, s10, v3
	v_addc_co_u32_e32 v29, vcc, v30, v4, vcc
	v_lshlrev_b64 v[1:2], 3, v[1:2]
	v_mul_u32_u24_e32 v0, 0x144, v0
	v_sub_u32_e32 v0, v18, v0
	v_lshlrev_b32_e32 v0, 3, v0
	s_movk_i32 s1, 0x1000
	s_waitcnt vmcnt(1)
	v_mul_f32_e32 v3, v8, v13
	s_waitcnt lgkmcnt(1)
	v_mul_f32_e32 v11, v26, v13
	s_waitcnt lgkmcnt(0)
	v_mul_f32_e32 v13, v28, v15
	v_mul_f32_e32 v4, v10, v15
	v_fma_f32 v3, v26, v12, -v3
	v_fmac_f32_e32 v11, v8, v12
	v_fmac_f32_e32 v13, v10, v14
	s_waitcnt vmcnt(0)
	v_mul_f32_e32 v8, v9, v22
	v_mul_f32_e32 v10, v25, v20
	v_mul_f32_e32 v12, v27, v22
	v_fma_f32 v15, v28, v14, -v4
	v_mul_f32_e32 v4, v7, v20
	v_fma_f32 v22, v27, v21, -v8
	v_add_f32_e32 v8, v24, v3
	v_fmac_f32_e32 v10, v7, v19
	v_fmac_f32_e32 v12, v9, v21
	v_fma_f32 v14, v25, v19, -v4
	v_add_f32_e32 v4, v3, v15
	v_sub_f32_e32 v20, v11, v13
	v_add_f32_e32 v25, v11, v13
	v_sub_f32_e32 v26, v3, v15
	v_add_f32_e32 v11, v6, v11
	v_add_f32_e32 v7, v8, v15
	v_add_f32_e32 v15, v10, v12
	v_fma_f32 v3, -0.5, v25, v6
	v_add_f32_e32 v6, v11, v13
	v_add_f32_e32 v11, v14, v22
	v_sub_f32_e32 v19, v10, v12
	v_add_f32_e32 v13, v23, v14
	v_sub_f32_e32 v21, v14, v22
	v_add_f32_e32 v14, v5, v10
	v_fma_f32 v10, -0.5, v15, v5
	v_add_co_u32_e32 v5, vcc, v16, v1
	v_addc_co_u32_e32 v2, vcc, v29, v2, vcc
	v_add_co_u32_e32 v0, vcc, v5, v0
	v_fma_f32 v11, -0.5, v11, v23
	v_add_f32_e32 v13, v13, v22
	v_add_f32_e32 v12, v14, v12
	v_mov_b32_e32 v14, v10
	v_fmac_f32_e32 v10, 0xbf5db3d7, v21
	v_addc_co_u32_e32 v1, vcc, 0, v2, vcc
	v_mov_b32_e32 v15, v11
	v_fmac_f32_e32 v11, 0x3f5db3d7, v19
	global_store_dwordx2 v[0:1], v[12:13], off
	global_store_dwordx2 v[0:1], v[10:11], off offset:2592
	v_add_u32_e32 v10, 0xa2, v18
	v_mul_hi_u32 v11, v10, s0
	v_add_co_u32_e32 v0, vcc, s1, v0
	v_fmac_f32_e32 v15, 0xbf5db3d7, v19
	v_fmac_f32_e32 v14, 0x3f5db3d7, v21
	v_addc_co_u32_e32 v1, vcc, 0, v1, vcc
	global_store_dwordx2 v[0:1], v[14:15], off offset:1088
	v_lshrrev_b32_e32 v0, 8, v11
	v_mul_u32_u24_e32 v1, 0x144, v0
	v_sub_u32_e32 v1, v10, v1
	s_movk_i32 s0, 0x3cc
	v_mad_u32_u24 v16, v0, s0, v1
	v_lshlrev_b64 v[0:1], 3, v[16:17]
	v_fma_f32 v4, -0.5, v4, v24
	v_add_co_u32_e32 v0, vcc, v5, v0
	v_addc_co_u32_e32 v1, vcc, v2, v1, vcc
	global_store_dwordx2 v[0:1], v[6:7], off
	v_add_u32_e32 v0, 0x144, v16
	v_mov_b32_e32 v1, v17
	v_lshlrev_b64 v[0:1], 3, v[0:1]
	v_mov_b32_e32 v9, v4
	v_add_co_u32_e32 v0, vcc, v5, v0
	v_fmac_f32_e32 v4, 0x3f5db3d7, v20
	v_mov_b32_e32 v8, v3
	v_fmac_f32_e32 v3, 0xbf5db3d7, v26
	v_addc_co_u32_e32 v1, vcc, v2, v1, vcc
	v_add_u32_e32 v16, 0x288, v16
	global_store_dwordx2 v[0:1], v[3:4], off
	v_lshlrev_b64 v[0:1], 3, v[16:17]
	v_fmac_f32_e32 v9, 0xbf5db3d7, v20
	v_add_co_u32_e32 v0, vcc, v5, v0
	v_fmac_f32_e32 v8, 0x3f5db3d7, v26
	v_addc_co_u32_e32 v1, vcc, v2, v1, vcc
	global_store_dwordx2 v[0:1], v[8:9], off
.LBB0_15:
	s_endpgm
	.section	.rodata,"a",@progbits
	.p2align	6, 0x0
	.amdhsa_kernel fft_rtc_back_len972_factors_3_6_3_6_3_wgs_162_tpt_162_halfLds_sp_op_CI_CI_unitstride_sbrr_dirReg
		.amdhsa_group_segment_fixed_size 0
		.amdhsa_private_segment_fixed_size 0
		.amdhsa_kernarg_size 104
		.amdhsa_user_sgpr_count 6
		.amdhsa_user_sgpr_private_segment_buffer 1
		.amdhsa_user_sgpr_dispatch_ptr 0
		.amdhsa_user_sgpr_queue_ptr 0
		.amdhsa_user_sgpr_kernarg_segment_ptr 1
		.amdhsa_user_sgpr_dispatch_id 0
		.amdhsa_user_sgpr_flat_scratch_init 0
		.amdhsa_user_sgpr_private_segment_size 0
		.amdhsa_uses_dynamic_stack 0
		.amdhsa_system_sgpr_private_segment_wavefront_offset 0
		.amdhsa_system_sgpr_workgroup_id_x 1
		.amdhsa_system_sgpr_workgroup_id_y 0
		.amdhsa_system_sgpr_workgroup_id_z 0
		.amdhsa_system_sgpr_workgroup_info 0
		.amdhsa_system_vgpr_workitem_id 0
		.amdhsa_next_free_vgpr 36
		.amdhsa_next_free_sgpr 28
		.amdhsa_reserve_vcc 1
		.amdhsa_reserve_flat_scratch 0
		.amdhsa_float_round_mode_32 0
		.amdhsa_float_round_mode_16_64 0
		.amdhsa_float_denorm_mode_32 3
		.amdhsa_float_denorm_mode_16_64 3
		.amdhsa_dx10_clamp 1
		.amdhsa_ieee_mode 1
		.amdhsa_fp16_overflow 0
		.amdhsa_exception_fp_ieee_invalid_op 0
		.amdhsa_exception_fp_denorm_src 0
		.amdhsa_exception_fp_ieee_div_zero 0
		.amdhsa_exception_fp_ieee_overflow 0
		.amdhsa_exception_fp_ieee_underflow 0
		.amdhsa_exception_fp_ieee_inexact 0
		.amdhsa_exception_int_div_zero 0
	.end_amdhsa_kernel
	.text
.Lfunc_end0:
	.size	fft_rtc_back_len972_factors_3_6_3_6_3_wgs_162_tpt_162_halfLds_sp_op_CI_CI_unitstride_sbrr_dirReg, .Lfunc_end0-fft_rtc_back_len972_factors_3_6_3_6_3_wgs_162_tpt_162_halfLds_sp_op_CI_CI_unitstride_sbrr_dirReg
                                        ; -- End function
	.section	.AMDGPU.csdata,"",@progbits
; Kernel info:
; codeLenInByte = 4096
; NumSgprs: 32
; NumVgprs: 36
; ScratchSize: 0
; MemoryBound: 0
; FloatMode: 240
; IeeeMode: 1
; LDSByteSize: 0 bytes/workgroup (compile time only)
; SGPRBlocks: 3
; VGPRBlocks: 8
; NumSGPRsForWavesPerEU: 32
; NumVGPRsForWavesPerEU: 36
; Occupancy: 7
; WaveLimiterHint : 1
; COMPUTE_PGM_RSRC2:SCRATCH_EN: 0
; COMPUTE_PGM_RSRC2:USER_SGPR: 6
; COMPUTE_PGM_RSRC2:TRAP_HANDLER: 0
; COMPUTE_PGM_RSRC2:TGID_X_EN: 1
; COMPUTE_PGM_RSRC2:TGID_Y_EN: 0
; COMPUTE_PGM_RSRC2:TGID_Z_EN: 0
; COMPUTE_PGM_RSRC2:TIDIG_COMP_CNT: 0
	.type	__hip_cuid_5fa0b5f202ceb545,@object ; @__hip_cuid_5fa0b5f202ceb545
	.section	.bss,"aw",@nobits
	.globl	__hip_cuid_5fa0b5f202ceb545
__hip_cuid_5fa0b5f202ceb545:
	.byte	0                               ; 0x0
	.size	__hip_cuid_5fa0b5f202ceb545, 1

	.ident	"AMD clang version 19.0.0git (https://github.com/RadeonOpenCompute/llvm-project roc-6.4.0 25133 c7fe45cf4b819c5991fe208aaa96edf142730f1d)"
	.section	".note.GNU-stack","",@progbits
	.addrsig
	.addrsig_sym __hip_cuid_5fa0b5f202ceb545
	.amdgpu_metadata
---
amdhsa.kernels:
  - .args:
      - .actual_access:  read_only
        .address_space:  global
        .offset:         0
        .size:           8
        .value_kind:     global_buffer
      - .offset:         8
        .size:           8
        .value_kind:     by_value
      - .actual_access:  read_only
        .address_space:  global
        .offset:         16
        .size:           8
        .value_kind:     global_buffer
      - .actual_access:  read_only
        .address_space:  global
        .offset:         24
        .size:           8
        .value_kind:     global_buffer
      - .actual_access:  read_only
        .address_space:  global
        .offset:         32
        .size:           8
        .value_kind:     global_buffer
      - .offset:         40
        .size:           8
        .value_kind:     by_value
      - .actual_access:  read_only
        .address_space:  global
        .offset:         48
        .size:           8
        .value_kind:     global_buffer
      - .actual_access:  read_only
        .address_space:  global
        .offset:         56
        .size:           8
        .value_kind:     global_buffer
      - .offset:         64
        .size:           4
        .value_kind:     by_value
      - .actual_access:  read_only
        .address_space:  global
        .offset:         72
        .size:           8
        .value_kind:     global_buffer
      - .actual_access:  read_only
        .address_space:  global
        .offset:         80
        .size:           8
        .value_kind:     global_buffer
      - .actual_access:  read_only
        .address_space:  global
        .offset:         88
        .size:           8
        .value_kind:     global_buffer
      - .actual_access:  write_only
        .address_space:  global
        .offset:         96
        .size:           8
        .value_kind:     global_buffer
    .group_segment_fixed_size: 0
    .kernarg_segment_align: 8
    .kernarg_segment_size: 104
    .language:       OpenCL C
    .language_version:
      - 2
      - 0
    .max_flat_workgroup_size: 162
    .name:           fft_rtc_back_len972_factors_3_6_3_6_3_wgs_162_tpt_162_halfLds_sp_op_CI_CI_unitstride_sbrr_dirReg
    .private_segment_fixed_size: 0
    .sgpr_count:     32
    .sgpr_spill_count: 0
    .symbol:         fft_rtc_back_len972_factors_3_6_3_6_3_wgs_162_tpt_162_halfLds_sp_op_CI_CI_unitstride_sbrr_dirReg.kd
    .uniform_work_group_size: 1
    .uses_dynamic_stack: false
    .vgpr_count:     36
    .vgpr_spill_count: 0
    .wavefront_size: 64
amdhsa.target:   amdgcn-amd-amdhsa--gfx906
amdhsa.version:
  - 1
  - 2
...

	.end_amdgpu_metadata
